;; amdgpu-corpus repo=ROCm/rocFFT kind=compiled arch=gfx1201 opt=O3
	.text
	.amdgcn_target "amdgcn-amd-amdhsa--gfx1201"
	.amdhsa_code_object_version 6
	.protected	fft_rtc_back_len135_factors_5_3_3_3_wgs_126_tpt_9_halfLds_sp_ip_CI_unitstride_sbrr_dirReg ; -- Begin function fft_rtc_back_len135_factors_5_3_3_3_wgs_126_tpt_9_halfLds_sp_ip_CI_unitstride_sbrr_dirReg
	.globl	fft_rtc_back_len135_factors_5_3_3_3_wgs_126_tpt_9_halfLds_sp_ip_CI_unitstride_sbrr_dirReg
	.p2align	8
	.type	fft_rtc_back_len135_factors_5_3_3_3_wgs_126_tpt_9_halfLds_sp_ip_CI_unitstride_sbrr_dirReg,@function
fft_rtc_back_len135_factors_5_3_3_3_wgs_126_tpt_9_halfLds_sp_ip_CI_unitstride_sbrr_dirReg: ; @fft_rtc_back_len135_factors_5_3_3_3_wgs_126_tpt_9_halfLds_sp_ip_CI_unitstride_sbrr_dirReg
; %bb.0:
	s_load_b128 s[4:7], s[0:1], 0x0
	v_mul_u32_u24_e32 v1, 0x1c72, v0
	s_clause 0x1
	s_load_b64 s[8:9], s[0:1], 0x50
	s_load_b64 s[10:11], s[0:1], 0x18
	v_mov_b32_e32 v3, 0
	v_lshrrev_b32_e32 v1, 16, v1
	s_delay_alu instid0(VALU_DEP_1) | instskip(SKIP_1) | instid1(VALU_DEP_4)
	v_mad_co_u64_u32 v[6:7], null, ttmp9, 14, v[1:2]
	v_mov_b32_e32 v1, 0
	v_dual_mov_b32 v2, 0 :: v_dual_mov_b32 v7, v3
	s_delay_alu instid0(VALU_DEP_3) | instskip(SKIP_2) | instid1(VALU_DEP_3)
	v_mov_b32_e32 v4, v6
	s_wait_kmcnt 0x0
	v_cmp_lt_u64_e64 s2, s[6:7], 2
	v_mov_b32_e32 v5, v7
	s_delay_alu instid0(VALU_DEP_2)
	s_and_b32 vcc_lo, exec_lo, s2
	s_cbranch_vccnz .LBB0_8
; %bb.1:
	s_load_b64 s[2:3], s[0:1], 0x10
	v_dual_mov_b32 v1, 0 :: v_dual_mov_b32 v8, v7
	v_dual_mov_b32 v2, 0 :: v_dual_mov_b32 v7, v6
	s_add_nc_u64 s[12:13], s[10:11], 8
	s_mov_b64 s[14:15], 1
	s_wait_kmcnt 0x0
	s_add_nc_u64 s[16:17], s[2:3], 8
	s_mov_b32 s3, 0
.LBB0_2:                                ; =>This Inner Loop Header: Depth=1
	s_load_b64 s[18:19], s[16:17], 0x0
	s_wait_kmcnt 0x0
	s_delay_alu instid0(VALU_DEP_1) | instskip(NEXT) | instid1(VALU_DEP_1)
	v_or_b32_e32 v4, s19, v8
	v_cmp_ne_u64_e32 vcc_lo, 0, v[3:4]
                                        ; implicit-def: $vgpr4_vgpr5
	s_and_saveexec_b32 s2, vcc_lo
	s_wait_alu 0xfffe
	s_xor_b32 s20, exec_lo, s2
	s_cbranch_execz .LBB0_4
; %bb.3:                                ;   in Loop: Header=BB0_2 Depth=1
	s_cvt_f32_u32 s2, s18
	s_cvt_f32_u32 s21, s19
	s_sub_nc_u64 s[24:25], 0, s[18:19]
	s_wait_alu 0xfffe
	s_delay_alu instid0(SALU_CYCLE_1) | instskip(SKIP_1) | instid1(SALU_CYCLE_2)
	s_fmamk_f32 s2, s21, 0x4f800000, s2
	s_wait_alu 0xfffe
	v_s_rcp_f32 s2, s2
	s_delay_alu instid0(TRANS32_DEP_1) | instskip(SKIP_1) | instid1(SALU_CYCLE_2)
	s_mul_f32 s2, s2, 0x5f7ffffc
	s_wait_alu 0xfffe
	s_mul_f32 s21, s2, 0x2f800000
	s_wait_alu 0xfffe
	s_delay_alu instid0(SALU_CYCLE_2) | instskip(SKIP_1) | instid1(SALU_CYCLE_2)
	s_trunc_f32 s21, s21
	s_wait_alu 0xfffe
	s_fmamk_f32 s2, s21, 0xcf800000, s2
	s_cvt_u32_f32 s23, s21
	s_wait_alu 0xfffe
	s_delay_alu instid0(SALU_CYCLE_1) | instskip(SKIP_1) | instid1(SALU_CYCLE_2)
	s_cvt_u32_f32 s22, s2
	s_wait_alu 0xfffe
	s_mul_u64 s[26:27], s[24:25], s[22:23]
	s_wait_alu 0xfffe
	s_mul_hi_u32 s29, s22, s27
	s_mul_i32 s28, s22, s27
	s_mul_hi_u32 s2, s22, s26
	s_mul_i32 s30, s23, s26
	s_wait_alu 0xfffe
	s_add_nc_u64 s[28:29], s[2:3], s[28:29]
	s_mul_hi_u32 s21, s23, s26
	s_mul_hi_u32 s31, s23, s27
	s_add_co_u32 s2, s28, s30
	s_wait_alu 0xfffe
	s_add_co_ci_u32 s2, s29, s21
	s_mul_i32 s26, s23, s27
	s_add_co_ci_u32 s27, s31, 0
	s_wait_alu 0xfffe
	s_add_nc_u64 s[26:27], s[2:3], s[26:27]
	s_wait_alu 0xfffe
	v_add_co_u32 v4, s2, s22, s26
	s_delay_alu instid0(VALU_DEP_1) | instskip(SKIP_1) | instid1(VALU_DEP_1)
	s_cmp_lg_u32 s2, 0
	s_add_co_ci_u32 s23, s23, s27
	v_readfirstlane_b32 s22, v4
	s_wait_alu 0xfffe
	s_delay_alu instid0(VALU_DEP_1)
	s_mul_u64 s[24:25], s[24:25], s[22:23]
	s_wait_alu 0xfffe
	s_mul_hi_u32 s27, s22, s25
	s_mul_i32 s26, s22, s25
	s_mul_hi_u32 s2, s22, s24
	s_mul_i32 s28, s23, s24
	s_wait_alu 0xfffe
	s_add_nc_u64 s[26:27], s[2:3], s[26:27]
	s_mul_hi_u32 s21, s23, s24
	s_mul_hi_u32 s22, s23, s25
	s_wait_alu 0xfffe
	s_add_co_u32 s2, s26, s28
	s_add_co_ci_u32 s2, s27, s21
	s_mul_i32 s24, s23, s25
	s_add_co_ci_u32 s25, s22, 0
	s_wait_alu 0xfffe
	s_add_nc_u64 s[24:25], s[2:3], s[24:25]
	s_wait_alu 0xfffe
	v_add_co_u32 v9, s2, v4, s24
	s_delay_alu instid0(VALU_DEP_1) | instskip(SKIP_1) | instid1(VALU_DEP_1)
	s_cmp_lg_u32 s2, 0
	s_add_co_ci_u32 s2, s23, s25
	v_mul_hi_u32 v13, v7, v9
	s_wait_alu 0xfffe
	v_mad_co_u64_u32 v[4:5], null, v7, s2, 0
	v_mad_co_u64_u32 v[9:10], null, v8, v9, 0
	;; [unrolled: 1-line block ×3, first 2 shown]
	s_delay_alu instid0(VALU_DEP_3) | instskip(SKIP_1) | instid1(VALU_DEP_4)
	v_add_co_u32 v4, vcc_lo, v13, v4
	s_wait_alu 0xfffd
	v_add_co_ci_u32_e32 v5, vcc_lo, 0, v5, vcc_lo
	s_delay_alu instid0(VALU_DEP_2) | instskip(SKIP_1) | instid1(VALU_DEP_2)
	v_add_co_u32 v4, vcc_lo, v4, v9
	s_wait_alu 0xfffd
	v_add_co_ci_u32_e32 v4, vcc_lo, v5, v10, vcc_lo
	s_wait_alu 0xfffd
	v_add_co_ci_u32_e32 v5, vcc_lo, 0, v12, vcc_lo
	s_delay_alu instid0(VALU_DEP_2) | instskip(SKIP_1) | instid1(VALU_DEP_2)
	v_add_co_u32 v9, vcc_lo, v4, v11
	s_wait_alu 0xfffd
	v_add_co_ci_u32_e32 v10, vcc_lo, 0, v5, vcc_lo
	s_delay_alu instid0(VALU_DEP_2) | instskip(SKIP_1) | instid1(VALU_DEP_3)
	v_mul_lo_u32 v11, s19, v9
	v_mad_co_u64_u32 v[4:5], null, s18, v9, 0
	v_mul_lo_u32 v12, s18, v10
	s_delay_alu instid0(VALU_DEP_2) | instskip(NEXT) | instid1(VALU_DEP_2)
	v_sub_co_u32 v4, vcc_lo, v7, v4
	v_add3_u32 v5, v5, v12, v11
	s_delay_alu instid0(VALU_DEP_1) | instskip(SKIP_1) | instid1(VALU_DEP_1)
	v_sub_nc_u32_e32 v11, v8, v5
	s_wait_alu 0xfffd
	v_subrev_co_ci_u32_e64 v11, s2, s19, v11, vcc_lo
	v_add_co_u32 v12, s2, v9, 2
	s_wait_alu 0xf1ff
	v_add_co_ci_u32_e64 v13, s2, 0, v10, s2
	v_sub_co_u32 v14, s2, v4, s18
	v_sub_co_ci_u32_e32 v5, vcc_lo, v8, v5, vcc_lo
	s_wait_alu 0xf1ff
	v_subrev_co_ci_u32_e64 v11, s2, 0, v11, s2
	s_delay_alu instid0(VALU_DEP_3) | instskip(NEXT) | instid1(VALU_DEP_3)
	v_cmp_le_u32_e32 vcc_lo, s18, v14
	v_cmp_eq_u32_e64 s2, s19, v5
	s_wait_alu 0xfffd
	v_cndmask_b32_e64 v14, 0, -1, vcc_lo
	v_cmp_le_u32_e32 vcc_lo, s19, v11
	s_wait_alu 0xfffd
	v_cndmask_b32_e64 v15, 0, -1, vcc_lo
	v_cmp_le_u32_e32 vcc_lo, s18, v4
	;; [unrolled: 3-line block ×3, first 2 shown]
	s_wait_alu 0xfffd
	v_cndmask_b32_e64 v16, 0, -1, vcc_lo
	v_cmp_eq_u32_e32 vcc_lo, s19, v11
	s_wait_alu 0xf1ff
	s_delay_alu instid0(VALU_DEP_2)
	v_cndmask_b32_e64 v4, v16, v4, s2
	s_wait_alu 0xfffd
	v_cndmask_b32_e32 v11, v15, v14, vcc_lo
	v_add_co_u32 v14, vcc_lo, v9, 1
	s_wait_alu 0xfffd
	v_add_co_ci_u32_e32 v15, vcc_lo, 0, v10, vcc_lo
	s_delay_alu instid0(VALU_DEP_3) | instskip(SKIP_2) | instid1(VALU_DEP_3)
	v_cmp_ne_u32_e32 vcc_lo, 0, v11
	s_wait_alu 0xfffd
	v_cndmask_b32_e32 v11, v14, v12, vcc_lo
	v_cndmask_b32_e32 v5, v15, v13, vcc_lo
	v_cmp_ne_u32_e32 vcc_lo, 0, v4
	s_wait_alu 0xfffd
	s_delay_alu instid0(VALU_DEP_2)
	v_dual_cndmask_b32 v4, v9, v11 :: v_dual_cndmask_b32 v5, v10, v5
.LBB0_4:                                ;   in Loop: Header=BB0_2 Depth=1
	s_wait_alu 0xfffe
	s_and_not1_saveexec_b32 s2, s20
	s_cbranch_execz .LBB0_6
; %bb.5:                                ;   in Loop: Header=BB0_2 Depth=1
	v_cvt_f32_u32_e32 v4, s18
	s_sub_co_i32 s20, 0, s18
	s_delay_alu instid0(VALU_DEP_1) | instskip(NEXT) | instid1(TRANS32_DEP_1)
	v_rcp_iflag_f32_e32 v4, v4
	v_mul_f32_e32 v4, 0x4f7ffffe, v4
	s_delay_alu instid0(VALU_DEP_1) | instskip(SKIP_1) | instid1(VALU_DEP_1)
	v_cvt_u32_f32_e32 v4, v4
	s_wait_alu 0xfffe
	v_mul_lo_u32 v5, s20, v4
	s_delay_alu instid0(VALU_DEP_1) | instskip(NEXT) | instid1(VALU_DEP_1)
	v_mul_hi_u32 v5, v4, v5
	v_add_nc_u32_e32 v4, v4, v5
	s_delay_alu instid0(VALU_DEP_1) | instskip(NEXT) | instid1(VALU_DEP_1)
	v_mul_hi_u32 v4, v7, v4
	v_mul_lo_u32 v5, v4, s18
	v_add_nc_u32_e32 v9, 1, v4
	s_delay_alu instid0(VALU_DEP_2) | instskip(NEXT) | instid1(VALU_DEP_1)
	v_sub_nc_u32_e32 v5, v7, v5
	v_subrev_nc_u32_e32 v10, s18, v5
	v_cmp_le_u32_e32 vcc_lo, s18, v5
	s_wait_alu 0xfffd
	s_delay_alu instid0(VALU_DEP_2) | instskip(NEXT) | instid1(VALU_DEP_1)
	v_dual_cndmask_b32 v5, v5, v10 :: v_dual_cndmask_b32 v4, v4, v9
	v_cmp_le_u32_e32 vcc_lo, s18, v5
	v_mov_b32_e32 v5, v3
	s_delay_alu instid0(VALU_DEP_3) | instskip(SKIP_1) | instid1(VALU_DEP_1)
	v_add_nc_u32_e32 v9, 1, v4
	s_wait_alu 0xfffd
	v_cndmask_b32_e32 v4, v4, v9, vcc_lo
.LBB0_6:                                ;   in Loop: Header=BB0_2 Depth=1
	s_wait_alu 0xfffe
	s_or_b32 exec_lo, exec_lo, s2
	s_load_b64 s[20:21], s[12:13], 0x0
	v_mul_lo_u32 v11, v5, s18
	v_mul_lo_u32 v12, v4, s19
	v_mad_co_u64_u32 v[9:10], null, v4, s18, 0
	s_add_nc_u64 s[14:15], s[14:15], 1
	s_add_nc_u64 s[12:13], s[12:13], 8
	s_wait_alu 0xfffe
	v_cmp_ge_u64_e64 s2, s[14:15], s[6:7]
	s_add_nc_u64 s[16:17], s[16:17], 8
	s_delay_alu instid0(VALU_DEP_2) | instskip(NEXT) | instid1(VALU_DEP_3)
	v_add3_u32 v10, v10, v12, v11
	v_sub_co_u32 v7, vcc_lo, v7, v9
	s_wait_alu 0xfffd
	s_delay_alu instid0(VALU_DEP_2) | instskip(SKIP_3) | instid1(VALU_DEP_2)
	v_sub_co_ci_u32_e32 v8, vcc_lo, v8, v10, vcc_lo
	s_and_b32 vcc_lo, exec_lo, s2
	s_wait_kmcnt 0x0
	v_mul_lo_u32 v9, s21, v7
	v_mul_lo_u32 v8, s20, v8
	v_mad_co_u64_u32 v[1:2], null, s20, v7, v[1:2]
	s_delay_alu instid0(VALU_DEP_1)
	v_add3_u32 v2, v9, v2, v8
	s_wait_alu 0xfffe
	s_cbranch_vccnz .LBB0_8
; %bb.7:                                ;   in Loop: Header=BB0_2 Depth=1
	v_dual_mov_b32 v8, v5 :: v_dual_mov_b32 v7, v4
	s_branch .LBB0_2
.LBB0_8:
	s_lshl_b64 s[2:3], s[6:7], 3
	v_mul_hi_u32 v8, 0x1c71c71d, v0
	s_wait_alu 0xfffe
	s_add_nc_u64 s[2:3], s[10:11], s[2:3]
                                        ; implicit-def: $vgpr18
                                        ; implicit-def: $vgpr14
                                        ; implicit-def: $vgpr16
                                        ; implicit-def: $vgpr12
                                        ; implicit-def: $vgpr26
                                        ; implicit-def: $vgpr24
                                        ; implicit-def: $vgpr22
                                        ; implicit-def: $vgpr20
                                        ; implicit-def: $vgpr10
                                        ; implicit-def: $vgpr34
                                        ; implicit-def: $vgpr32
                                        ; implicit-def: $vgpr30
                                        ; implicit-def: $vgpr28
	s_load_b64 s[2:3], s[2:3], 0x0
	s_load_b64 s[0:1], s[0:1], 0x20
	s_wait_kmcnt 0x0
	v_mul_lo_u32 v3, s2, v5
	v_mul_lo_u32 v7, s3, v4
	v_mad_co_u64_u32 v[1:2], null, s2, v4, v[1:2]
	v_cmp_gt_u64_e32 vcc_lo, s[0:1], v[4:5]
                                        ; implicit-def: $vgpr5
	s_delay_alu instid0(VALU_DEP_2) | instskip(SKIP_1) | instid1(VALU_DEP_2)
	v_add3_u32 v2, v7, v2, v3
	v_mul_u32_u24_e32 v3, 9, v8
                                        ; implicit-def: $vgpr8
	v_lshlrev_b64_e32 v[1:2], 3, v[1:2]
	s_delay_alu instid0(VALU_DEP_2)
	v_sub_nc_u32_e32 v3, v0, v3
	s_and_saveexec_b32 s1, vcc_lo
; %bb.9:
	v_mov_b32_e32 v4, 0
	s_delay_alu instid0(VALU_DEP_3) | instskip(SKIP_2) | instid1(VALU_DEP_3)
	v_add_co_u32 v0, s0, s8, v1
	s_wait_alu 0xf1ff
	v_add_co_ci_u32_e64 v7, s0, s9, v2, s0
	v_lshlrev_b64_e32 v[4:5], 3, v[3:4]
	s_delay_alu instid0(VALU_DEP_1) | instskip(SKIP_1) | instid1(VALU_DEP_2)
	v_add_co_u32 v17, s0, v0, v4
	s_wait_alu 0xf1ff
	v_add_co_ci_u32_e64 v18, s0, v7, v5, s0
	s_clause 0xe
	global_load_b64 v[7:8], v[17:18], off
	global_load_b64 v[9:10], v[17:18], off offset:72
	global_load_b64 v[19:20], v[17:18], off offset:288
	;; [unrolled: 1-line block ×14, first 2 shown]
; %bb.10:
	s_wait_alu 0xfffe
	s_or_b32 exec_lo, exec_lo, s1
	v_lshrrev_b32_e32 v0, 1, v6
	s_wait_loadcnt 0x4
	v_dual_add_f32 v35, v27, v7 :: v_dual_sub_f32 v38, v30, v32
	s_wait_loadcnt 0x2
	v_dual_add_f32 v36, v31, v29 :: v_dual_sub_f32 v37, v28, v34
	v_mul_hi_u32 v0, 0x92492493, v0
	v_dual_sub_f32 v39, v27, v29 :: v_dual_sub_f32 v40, v33, v31
	v_dual_add_f32 v41, v33, v27 :: v_dual_add_f32 v44, v28, v8
	v_dual_sub_f32 v42, v29, v27 :: v_dual_sub_f32 v43, v31, v33
	v_add_f32_e32 v35, v29, v35
	v_lshrrev_b32_e32 v0, 2, v0
	v_fma_f32 v36, -0.5, v36, v7
	v_add_f32_e32 v45, v32, v30
	v_fmac_f32_e32 v7, -0.5, v41
	v_add_f32_e32 v39, v40, v39
	v_mul_lo_u32 v0, v0, 14
	v_dual_add_f32 v40, v43, v42 :: v_dual_fmamk_f32 v41, v37, 0xbf737871, v36
	v_dual_fmac_f32 v36, 0x3f737871, v37 :: v_dual_add_f32 v35, v31, v35
	v_fma_f32 v49, -0.5, v45, v8
	v_sub_f32_e32 v27, v27, v33
	v_sub_f32_e32 v29, v29, v31
	v_sub_nc_u32_e32 v0, v6, v0
	v_fmac_f32_e32 v36, 0x3f167918, v38
	v_add_f32_e32 v6, v33, v35
	v_fmamk_f32 v42, v38, 0x3f737871, v7
	v_add_f32_e32 v35, v30, v44
	s_delay_alu instid0(VALU_DEP_4) | instskip(SKIP_1) | instid1(VALU_DEP_3)
	v_dual_sub_f32 v31, v28, v30 :: v_dual_fmac_f32 v36, 0x3e9e377a, v39
	v_mul_u32_u24_e32 v0, 0x87, v0
	v_dual_fmac_f32 v42, 0xbf167918, v37 :: v_dual_add_f32 v33, v32, v35
	v_add_f32_e32 v35, v34, v28
	v_sub_f32_e32 v28, v30, v28
	v_sub_f32_e32 v30, v32, v34
	v_fmamk_f32 v50, v27, 0x3f737871, v49
	v_fmac_f32_e32 v41, 0xbf167918, v38
	v_dual_add_f32 v33, v34, v33 :: v_dual_fmac_f32 v42, 0x3e9e377a, v40
	s_delay_alu instid0(VALU_DEP_4) | instskip(NEXT) | instid1(VALU_DEP_4)
	v_add_f32_e32 v28, v30, v28
	v_fmac_f32_e32 v50, 0x3f167918, v29
	v_dual_fmac_f32 v7, 0xbf737871, v38 :: v_dual_fmac_f32 v8, -0.5, v35
	v_add_f32_e32 v30, v19, v9
	s_wait_loadcnt 0x1
	v_add_f32_e32 v38, v25, v19
	v_fmac_f32_e32 v41, 0x3e9e377a, v39
	v_fmac_f32_e32 v7, 0x3f167918, v37
	v_dual_sub_f32 v37, v34, v32 :: v_dual_add_f32 v32, v23, v21
	v_dual_sub_f32 v34, v20, v26 :: v_dual_fmamk_f32 v51, v29, 0xbf737871, v8
	s_delay_alu instid0(VALU_DEP_3) | instskip(NEXT) | instid1(VALU_DEP_3)
	v_fmac_f32_e32 v7, 0x3e9e377a, v40
	v_dual_add_f32 v31, v37, v31 :: v_dual_fmac_f32 v8, 0x3f737871, v29
	s_delay_alu instid0(VALU_DEP_4) | instskip(SKIP_2) | instid1(VALU_DEP_4)
	v_fma_f32 v32, -0.5, v32, v9
	v_fmac_f32_e32 v49, 0xbf737871, v27
	v_cmp_gt_u32_e64 s0, 5, v3
	v_fmac_f32_e32 v50, 0x3e9e377a, v31
	s_delay_alu instid0(VALU_DEP_3) | instskip(NEXT) | instid1(VALU_DEP_1)
	v_dual_fmac_f32 v8, 0xbf167918, v27 :: v_dual_fmac_f32 v49, 0xbf167918, v29
	v_dual_fmac_f32 v8, 0x3e9e377a, v28 :: v_dual_fmac_f32 v49, 0x3e9e377a, v31
	v_sub_f32_e32 v31, v22, v24
	v_dual_add_f32 v29, v21, v30 :: v_dual_fmamk_f32 v30, v34, 0xbf737871, v32
	v_dual_fmac_f32 v32, 0x3f737871, v34 :: v_dual_sub_f32 v35, v19, v21
	s_delay_alu instid0(VALU_DEP_2) | instskip(NEXT) | instid1(VALU_DEP_2)
	v_fmac_f32_e32 v30, 0xbf167918, v31
	v_dual_fmac_f32 v32, 0x3f167918, v31 :: v_dual_fmac_f32 v9, -0.5, v38
	v_dual_sub_f32 v37, v25, v23 :: v_dual_add_f32 v38, v20, v10
	v_fmac_f32_e32 v51, 0x3f167918, v27
	v_add_f32_e32 v27, v23, v29
	s_delay_alu instid0(VALU_DEP_3) | instskip(SKIP_1) | instid1(VALU_DEP_4)
	v_add_f32_e32 v29, v37, v35
	v_sub_f32_e32 v35, v21, v19
	v_fmac_f32_e32 v51, 0x3e9e377a, v28
	v_dual_fmamk_f32 v28, v31, 0x3f737871, v9 :: v_dual_sub_f32 v21, v21, v23
	v_fmac_f32_e32 v9, 0xbf737871, v31
	v_sub_f32_e32 v19, v19, v25
	v_add_f32_e32 v31, v22, v38
	s_delay_alu instid0(VALU_DEP_4) | instskip(NEXT) | instid1(VALU_DEP_4)
	v_dual_fmac_f32 v28, 0xbf167918, v34 :: v_dual_sub_f32 v37, v23, v25
	v_fmac_f32_e32 v9, 0x3f167918, v34
	v_dual_sub_f32 v23, v20, v22 :: v_dual_sub_f32 v34, v26, v24
	v_add_f32_e32 v27, v25, v27
	v_dual_add_f32 v25, v24, v31 :: v_dual_add_f32 v38, v14, v16
	s_delay_alu instid0(VALU_DEP_3)
	v_add_f32_e32 v23, v34, v23
	v_add_f32_e32 v31, v26, v20
	v_dual_add_f32 v39, v24, v22 :: v_dual_sub_f32 v20, v22, v20
	v_fmac_f32_e32 v30, 0x3e9e377a, v29
	v_fmac_f32_e32 v32, 0x3e9e377a, v29
	v_sub_f32_e32 v22, v24, v26
	s_delay_alu instid0(VALU_DEP_4) | instskip(SKIP_2) | instid1(VALU_DEP_3)
	v_fma_f32 v52, -0.5, v39, v10
	v_add_f32_e32 v24, v13, v15
	v_fma_f32 v53, -0.5, v38, v5
	v_dual_add_f32 v20, v22, v20 :: v_dual_fmamk_f32 v29, v19, 0x3f737871, v52
	v_fmac_f32_e32 v52, 0xbf737871, v19
	v_add_f32_e32 v22, v11, v4
	v_fma_f32 v24, -0.5, v24, v4
	s_delay_alu instid0(VALU_DEP_3) | instskip(NEXT) | instid1(VALU_DEP_1)
	v_dual_fmac_f32 v52, 0xbf167918, v21 :: v_dual_add_f32 v35, v37, v35
	v_fmac_f32_e32 v52, 0x3e9e377a, v23
	v_dual_fmac_f32 v10, -0.5, v31 :: v_dual_add_f32 v31, v26, v25
	v_sub_f32_e32 v26, v11, v15
	s_delay_alu instid0(VALU_DEP_4) | instskip(NEXT) | instid1(VALU_DEP_3)
	v_fmac_f32_e32 v28, 0x3e9e377a, v35
	v_fmamk_f32 v34, v21, 0xbf737871, v10
	s_delay_alu instid0(VALU_DEP_1) | instskip(NEXT) | instid1(VALU_DEP_1)
	v_fmac_f32_e32 v34, 0x3f167918, v19
	v_fmac_f32_e32 v34, 0x3e9e377a, v20
	;; [unrolled: 1-line block ×4, first 2 shown]
	s_wait_loadcnt 0x0
	s_delay_alu instid0(VALU_DEP_2) | instskip(SKIP_2) | instid1(VALU_DEP_3)
	v_dual_sub_f32 v25, v12, v18 :: v_dual_fmac_f32 v10, 0xbf167918, v19
	v_add_f32_e32 v21, v15, v22
	v_dual_sub_f32 v22, v16, v14 :: v_dual_add_f32 v37, v17, v11
	v_dual_fmac_f32 v9, 0x3e9e377a, v35 :: v_dual_fmac_f32 v10, 0x3e9e377a, v20
	s_delay_alu instid0(VALU_DEP_2) | instskip(SKIP_1) | instid1(VALU_DEP_2)
	v_fmac_f32_e32 v4, -0.5, v37
	v_sub_f32_e32 v35, v17, v13
	v_dual_add_f32 v19, v13, v21 :: v_dual_fmamk_f32 v20, v22, 0x3f737871, v4
	v_fmac_f32_e32 v4, 0xbf737871, v22
	s_delay_alu instid0(VALU_DEP_2) | instskip(NEXT) | instid1(VALU_DEP_2)
	v_fmac_f32_e32 v20, 0xbf167918, v25
	v_fmac_f32_e32 v4, 0x3f167918, v25
	v_add_f32_e32 v37, v12, v5
	v_add_f32_e32 v21, v35, v26
	v_dual_sub_f32 v26, v15, v11 :: v_dual_sub_f32 v35, v13, v17
	v_fmac_f32_e32 v29, 0x3e9e377a, v23
	v_fmamk_f32 v23, v25, 0xbf737871, v24
	v_fmac_f32_e32 v24, 0x3f737871, v25
	v_sub_f32_e32 v13, v15, v13
	v_add_f32_e32 v26, v35, v26
	v_sub_f32_e32 v25, v18, v14
	v_fmac_f32_e32 v23, 0xbf167918, v22
	v_fmac_f32_e32 v24, 0x3f167918, v22
	s_delay_alu instid0(VALU_DEP_4) | instskip(SKIP_1) | instid1(VALU_DEP_3)
	v_fmac_f32_e32 v4, 0x3e9e377a, v26
	v_dual_add_f32 v22, v16, v37 :: v_dual_add_f32 v19, v17, v19
	v_fmac_f32_e32 v24, 0x3e9e377a, v21
	v_sub_f32_e32 v17, v11, v17
	v_dual_fmac_f32 v23, 0x3e9e377a, v21 :: v_dual_fmac_f32 v20, 0x3e9e377a, v26
	s_delay_alu instid0(VALU_DEP_4) | instskip(SKIP_3) | instid1(VALU_DEP_4)
	v_add_f32_e32 v11, v14, v22
	v_add_f32_e32 v22, v18, v12
	v_sub_f32_e32 v14, v14, v18
	v_add_nc_u32_e32 v26, 9, v3
	v_dual_add_f32 v54, v18, v11 :: v_dual_lshlrev_b32 v11, 2, v0
	v_dual_fmamk_f32 v21, v17, 0x3f737871, v53 :: v_dual_sub_f32 v0, v16, v12
	v_sub_f32_e32 v15, v12, v16
	v_fmac_f32_e32 v5, -0.5, v22
	s_delay_alu instid0(VALU_DEP_4) | instskip(NEXT) | instid1(VALU_DEP_4)
	v_dual_fmac_f32 v53, 0xbf737871, v17 :: v_dual_add_nc_u32 v12, 0, v11
	v_dual_fmac_f32 v21, 0x3f167918, v13 :: v_dual_add_nc_u32 v22, 18, v3
	s_delay_alu instid0(VALU_DEP_3) | instskip(SKIP_1) | instid1(VALU_DEP_4)
	v_dual_add_f32 v0, v14, v0 :: v_dual_fmamk_f32 v55, v13, 0xbf737871, v5
	v_fmac_f32_e32 v5, 0x3f737871, v13
	v_fmac_f32_e32 v53, 0xbf167918, v13
	v_mad_u32_u24 v13, v3, 20, v12
	ds_store_2addr_b32 v13, v6, v41 offset1:1
	ds_store_2addr_b32 v13, v42, v7 offset0:2 offset1:3
	ds_store_2addr_b32 v13, v27, v30 offset0:45 offset1:46
	;; [unrolled: 1-line block ×4, first 2 shown]
	v_dual_fmac_f32 v5, 0xbf167918, v17 :: v_dual_lshlrev_b32 v6, 2, v3
	ds_store_2addr_b32 v13, v19, v23 offset0:90 offset1:91
	ds_store_2addr_b32 v13, v20, v4 offset0:92 offset1:93
	ds_store_b32 v13, v24 offset:376
	v_dual_fmac_f32 v55, 0x3f167918, v17 :: v_dual_add_nc_u32 v24, 36, v3
	v_add_f32_e32 v15, v25, v15
	v_fmac_f32_e32 v5, 0x3e9e377a, v0
	v_add3_u32 v23, 0, v6, v11
	global_wb scope:SCOPE_SE
	s_wait_dscnt 0x0
	v_dual_fmac_f32 v55, 0x3e9e377a, v0 :: v_dual_add_nc_u32 v0, v12, v6
	s_barrier_signal -1
	s_barrier_wait -1
	global_inv scope:SCOPE_SE
	ds_load_b32 v63, v0
	ds_load_2addr_b32 v[35:36], v23 offset0:45 offset1:54
	ds_load_2addr_b32 v[37:38], v23 offset0:81 offset1:90
	;; [unrolled: 1-line block ×5, first 2 shown]
	v_fmac_f32_e32 v21, 0x3e9e377a, v15
	v_fmac_f32_e32 v53, 0x3e9e377a, v15
	ds_load_2addr_b32 v[45:46], v23 offset0:27 offset1:36
	ds_load_2addr_b32 v[47:48], v23 offset0:117 offset1:126
	global_wb scope:SCOPE_SE
	s_wait_dscnt 0x0
	s_barrier_signal -1
	s_barrier_wait -1
	global_inv scope:SCOPE_SE
	ds_store_2addr_b32 v13, v33, v50 offset1:1
	ds_store_2addr_b32 v13, v51, v8 offset0:2 offset1:3
	ds_store_2addr_b32 v13, v31, v29 offset0:45 offset1:46
	;; [unrolled: 1-line block ×6, first 2 shown]
	ds_store_b32 v13, v53 offset:376
	v_add_nc_u32_e32 v5, -5, v3
	v_and_b32_e32 v6, 0xff, v22
	v_and_b32_e32 v4, 0xff, v26
	v_add_nc_u32_e32 v25, 27, v3
	v_and_b32_e32 v65, 0xff, v24
	s_wait_alu 0xf1ff
	v_cndmask_b32_e64 v10, v5, v3, s0
	v_mul_lo_u16 v5, 0xcd, v6
	global_wb scope:SCOPE_SE
	s_wait_dscnt 0x0
	v_and_b32_e32 v64, 0xff, v25
	v_mul_lo_u16 v13, 0xcd, v65
	s_barrier_signal -1
	v_lshrrev_b16 v53, 10, v5
	v_mov_b32_e32 v5, 0
	v_mul_lo_u16 v4, 0xcd, v4
	v_mul_lo_u16 v7, 0xcd, v64
	v_lshrrev_b16 v66, 10, v13
	v_mul_lo_u16 v9, v53, 5
	s_barrier_wait -1
	v_lshrrev_b16 v21, 10, v4
	v_lshlrev_b32_e32 v4, 1, v10
	v_lshrrev_b16 v55, 10, v7
	v_mul_lo_u16 v13, v66, 5
	global_inv scope:SCOPE_SE
	v_mul_lo_u16 v6, v21, 5
	v_lshlrev_b32_e32 v10, 2, v10
	v_sub_nc_u16 v17, v24, v13
	s_delay_alu instid0(VALU_DEP_3) | instskip(SKIP_1) | instid1(VALU_DEP_3)
	v_sub_nc_u16 v8, v26, v6
	v_lshlrev_b64_e32 v[6:7], 3, v[4:5]
	v_and_b32_e32 v69, 0xff, v17
	s_delay_alu instid0(VALU_DEP_3) | instskip(SKIP_3) | instid1(VALU_DEP_4)
	v_and_b32_e32 v4, 0xff, v8
	v_sub_nc_u16 v8, v22, v9
	v_mul_lo_u16 v9, v55, 5
	v_add_co_u32 v6, s0, s4, v6
	v_lshlrev_b32_e32 v15, 4, v4
	s_delay_alu instid0(VALU_DEP_4) | instskip(NEXT) | instid1(VALU_DEP_4)
	v_and_b32_e32 v67, 0xff, v8
	v_sub_nc_u16 v14, v25, v9
	s_wait_alu 0xf1ff
	v_add_co_ci_u32_e64 v7, s0, s5, v7, s0
	v_lshlrev_b32_e32 v31, 4, v69
	v_lshlrev_b32_e32 v18, 4, v67
	v_and_b32_e32 v68, 0xff, v14
	s_clause 0x1
	global_load_b128 v[13:16], v15, s[4:5]
	global_load_b128 v[6:9], v[6:7], off
	v_cmp_lt_u32_e64 s0, 4, v3
	global_load_b128 v[17:20], v18, s[4:5]
	v_lshlrev_b32_e32 v27, 4, v68
	s_clause 0x1
	global_load_b128 v[27:30], v27, s[4:5]
	global_load_b128 v[31:34], v31, s[4:5]
	s_wait_alu 0xf1ff
	v_cndmask_b32_e64 v51, 0, 60, s0
	ds_load_2addr_b32 v[49:50], v23 offset0:45 offset1:54
	v_and_b32_e32 v70, 0xffff, v53
	ds_load_2addr_b32 v[53:54], v23 offset0:99 offset1:108
	v_and_b32_e32 v71, 0xffff, v55
	v_add_nc_u32_e32 v57, 0, v51
	ds_load_2addr_b32 v[51:52], v23 offset0:81 offset1:90
	ds_load_2addr_b32 v[55:56], v23 offset0:63 offset1:72
	v_cmp_gt_u32_e64 s0, 6, v3
	s_wait_loadcnt_dscnt 0x301
	v_dual_mul_f32 v75, v50, v14 :: v_dual_mul_f32 v74, v52, v9
	v_mul_f32_e32 v73, v49, v7
	v_mul_f32_e32 v7, v35, v7
	;; [unrolled: 1-line block ×3, first 2 shown]
	s_delay_alu instid0(VALU_DEP_4)
	v_dual_fmac_f32 v74, v38, v8 :: v_dual_and_b32 v21, 0xffff, v21
	v_mul_f32_e32 v14, v36, v14
	v_mul_f32_e32 v76, v53, v16
	s_wait_loadcnt 0x0
	v_mul_f32_e32 v81, v51, v32
	v_mul_f32_e32 v32, v37, v32
	v_add3_u32 v10, v57, v10, v11
	ds_load_b32 v72, v0
	ds_load_2addr_b32 v[57:58], v23 offset0:9 offset1:18
	ds_load_2addr_b32 v[59:60], v23 offset0:117 offset1:126
	;; [unrolled: 1-line block ×3, first 2 shown]
	v_mul_f32_e32 v16, v39, v16
	s_wait_dscnt 0x4
	v_dual_mul_f32 v78, v54, v20 :: v_dual_mul_f32 v77, v55, v18
	v_mul_f32_e32 v18, v43, v18
	v_mul_f32_e32 v20, v40, v20
	v_mul_f32_e32 v79, v56, v28
	s_delay_alu instid0(VALU_DEP_4)
	v_fmac_f32_e32 v78, v40, v19
	v_dual_mul_f32 v28, v44, v28 :: v_dual_fmac_f32 v73, v35, v6
	v_fma_f32 v6, v49, v6, -v7
	v_fma_f32 v7, v52, v8, -v9
	v_mul_f32_e32 v8, v48, v34
	v_fmac_f32_e32 v75, v36, v13
	v_fma_f32 v9, v50, v13, -v14
	v_fmac_f32_e32 v76, v39, v15
	v_fma_f32 v13, v53, v15, -v16
	v_fmac_f32_e32 v77, v43, v17
	v_fma_f32 v14, v55, v17, -v18
	s_wait_dscnt 0x1
	v_mul_f32_e32 v80, v59, v30
	v_mul_f32_e32 v82, v60, v34
	v_fma_f32 v15, v54, v19, -v20
	v_fmac_f32_e32 v79, v44, v27
	v_fma_f32 v16, v56, v27, -v28
	v_fmac_f32_e32 v80, v47, v29
	v_fma_f32 v18, v51, v31, -v32
	v_sub_f32_e32 v32, v9, v13
	v_fmac_f32_e32 v82, v48, v33
	v_dual_add_f32 v28, v72, v6 :: v_dual_sub_f32 v27, v6, v7
	v_add_f32_e32 v36, v77, v78
	v_add_f32_e32 v6, v6, v7
	;; [unrolled: 1-line block ×3, first 2 shown]
	v_dual_fmac_f32 v81, v37, v31 :: v_dual_sub_f32 v34, v75, v76
	v_mul_f32_e32 v30, v47, v30
	v_fma_f32 v8, v60, v33, -v8
	v_add_f32_e32 v19, v63, v73
	v_dual_add_f32 v31, v75, v76 :: v_dual_add_f32 v38, v58, v14
	v_dual_add_f32 v33, v57, v9 :: v_dual_sub_f32 v48, v79, v80
	s_wait_dscnt 0x0
	v_dual_add_f32 v9, v9, v13 :: v_dual_add_f32 v52, v62, v18
	v_dual_add_f32 v43, v79, v80 :: v_dual_add_f32 v50, v81, v82
	v_fmac_f32_e32 v63, -0.5, v20
	v_fma_f32 v17, v59, v29, -v30
	v_sub_f32_e32 v29, v73, v74
	v_sub_f32_e32 v37, v14, v15
	v_add_f32_e32 v14, v14, v15
	v_add_f32_e32 v30, v41, v75
	v_sub_f32_e32 v44, v16, v17
	v_dual_add_f32 v35, v42, v77 :: v_dual_add_f32 v40, v45, v79
	v_dual_add_f32 v47, v61, v16 :: v_dual_fmac_f32 v72, -0.5, v6
	v_dual_add_f32 v49, v46, v81 :: v_dual_fmac_f32 v42, -0.5, v36
	v_dual_sub_f32 v51, v18, v8 :: v_dual_fmac_f32 v58, -0.5, v14
	v_dual_add_f32 v18, v18, v8 :: v_dual_sub_f32 v53, v81, v82
	v_dual_add_f32 v19, v19, v74 :: v_dual_add_f32 v6, v30, v76
	s_delay_alu instid0(VALU_DEP_2)
	v_dual_add_f32 v7, v28, v7 :: v_dual_fmac_f32 v62, -0.5, v18
	v_fma_f32 v20, -0.5, v31, v41
	v_dual_add_f32 v13, v33, v13 :: v_dual_add_f32 v14, v40, v80
	v_fma_f32 v28, -0.5, v9, v57
	v_dual_fmac_f32 v46, -0.5, v50 :: v_dual_add_f32 v15, v38, v15
	v_dual_add_f32 v33, v52, v8 :: v_dual_fmamk_f32 v8, v27, 0xbf5db3d7, v63
	v_mad_u32_u24 v21, v21, 60, 0
	v_dual_fmac_f32 v63, 0x3f5db3d7, v27 :: v_dual_lshlrev_b32 v4, 2, v4
	v_dual_sub_f32 v39, v77, v78 :: v_dual_add_f32 v16, v16, v17
	global_wb scope:SCOPE_SE
	s_barrier_signal -1
	s_barrier_wait -1
	global_inv scope:SCOPE_SE
	v_add_f32_e32 v17, v47, v17
	v_dual_fmamk_f32 v27, v32, 0xbf5db3d7, v20 :: v_dual_lshlrev_b32 v40, 2, v68
	v_fmac_f32_e32 v20, 0x3f5db3d7, v32
	v_fmamk_f32 v32, v37, 0xbf5db3d7, v42
	v_fmac_f32_e32 v42, 0x3f5db3d7, v37
	ds_store_2addr_b32 v10, v19, v8 offset1:5
	ds_store_b32 v10, v63 offset:40
	v_and_b32_e32 v8, 0xffff, v66
	v_add3_u32 v4, v21, v4, v11
	v_mad_u32_u24 v19, v70, 60, 0
	v_lshlrev_b32_e32 v21, 2, v67
	v_dual_add_f32 v9, v35, v78 :: v_dual_fmamk_f32 v18, v29, 0x3f5db3d7, v72
	v_fma_f32 v30, -0.5, v43, v45
	v_dual_add_f32 v31, v49, v82 :: v_dual_fmac_f32 v72, 0xbf5db3d7, v29
	v_fmamk_f32 v29, v34, 0x3f5db3d7, v28
	v_fmac_f32_e32 v28, 0xbf5db3d7, v34
	v_dual_fmamk_f32 v34, v39, 0x3f5db3d7, v58 :: v_dual_lshlrev_b32 v41, 2, v69
	v_fmac_f32_e32 v58, 0xbf5db3d7, v39
	v_mad_u32_u24 v39, v71, 60, 0
	v_mad_u32_u24 v8, v8, 60, 0
	v_fma_f32 v16, -0.5, v16, v61
	v_add3_u32 v19, v19, v21, v11
	v_fmamk_f32 v35, v44, 0xbf5db3d7, v30
	ds_store_2addr_b32 v4, v6, v27 offset1:5
	v_add3_u32 v6, v39, v40, v11
	v_fmac_f32_e32 v30, 0x3f5db3d7, v44
	v_fmamk_f32 v37, v51, 0xbf5db3d7, v46
	v_fmac_f32_e32 v46, 0x3f5db3d7, v51
	ds_store_b32 v4, v20 offset:40
	v_add3_u32 v20, v8, v41, v11
	v_fmamk_f32 v36, v48, 0x3f5db3d7, v16
	v_fmac_f32_e32 v16, 0xbf5db3d7, v48
	v_fmamk_f32 v38, v53, 0x3f5db3d7, v62
	v_fmac_f32_e32 v62, 0xbf5db3d7, v53
	ds_store_2addr_b32 v19, v9, v32 offset1:5
	ds_store_b32 v19, v42 offset:40
	ds_store_2addr_b32 v6, v14, v35 offset1:5
	ds_store_b32 v6, v30 offset:40
	;; [unrolled: 2-line block ×3, first 2 shown]
	global_wb scope:SCOPE_SE
	s_wait_dscnt 0x0
	s_barrier_signal -1
	s_barrier_wait -1
	global_inv scope:SCOPE_SE
	ds_load_b32 v21, v0
	ds_load_2addr_b32 v[8:9], v23 offset0:45 offset1:54
	ds_load_2addr_b32 v[39:40], v23 offset0:81 offset1:90
	;; [unrolled: 1-line block ×7, first 2 shown]
	global_wb scope:SCOPE_SE
	s_wait_dscnt 0x0
	s_barrier_signal -1
	s_barrier_wait -1
	global_inv scope:SCOPE_SE
	ds_store_2addr_b32 v10, v7, v18 offset1:5
	ds_store_b32 v10, v72 offset:40
	ds_store_2addr_b32 v4, v13, v29 offset1:5
	ds_store_b32 v4, v28 offset:40
	;; [unrolled: 2-line block ×5, first 2 shown]
	v_add_nc_u32_e32 v6, -6, v3
	v_lshlrev_b32_e32 v4, 1, v3
	v_mul_lo_u16 v15, 0x89, v64
	v_mov_b32_e32 v14, v5
	global_wb scope:SCOPE_SE
	s_wait_dscnt 0x0
	s_wait_alu 0xf1ff
	v_cndmask_b32_e64 v10, v6, v26, s0
	v_lshlrev_b64_e32 v[6:7], 3, v[4:5]
	v_lshrrev_b16 v51, 11, v15
	v_mul_lo_u16 v15, 0x89, v65
	s_barrier_signal -1
	v_lshlrev_b32_e32 v13, 1, v10
	s_barrier_wait -1
	v_add_co_u32 v6, s0, s4, v6
	s_wait_alu 0xf1ff
	v_add_co_ci_u32_e64 v7, s0, s5, v7, s0
	global_inv scope:SCOPE_SE
	v_lshrrev_b16 v28, 11, v15
	v_lshlrev_b64_e32 v[17:18], 3, v[13:14]
	global_load_b128 v[13:16], v[6:7], off offset:80
	v_add_nc_u32_e32 v4, 6, v4
	v_mul_lo_u16 v27, v51, 15
	v_add_co_u32 v17, s0, s4, v17
	s_delay_alu instid0(VALU_DEP_3) | instskip(NEXT) | instid1(VALU_DEP_3)
	v_lshlrev_b64_e32 v[19:20], 3, v[4:5]
	v_sub_nc_u16 v4, v25, v27
	v_mul_lo_u16 v27, v28, 15
	s_wait_alu 0xf1ff
	v_add_co_ci_u32_e64 v18, s0, s5, v18, s0
	s_delay_alu instid0(VALU_DEP_3) | instskip(NEXT) | instid1(VALU_DEP_3)
	v_and_b32_e32 v4, 0xff, v4
	v_sub_nc_u16 v29, v24, v27
	v_add_co_u32 v27, s0, s4, v19
	s_wait_alu 0xf1ff
	v_add_co_ci_u32_e64 v28, s0, s5, v20, s0
	global_load_b128 v[17:20], v[17:18], off offset:80
	v_and_b32_e32 v59, 0xff, v29
	v_lshlrev_b32_e32 v31, 4, v4
	global_load_b128 v[27:30], v[27:28], off offset:80
	v_and_b32_e32 v55, 0xffff, v51
	v_cmp_lt_u32_e64 s0, 5, v3
	v_lshlrev_b32_e32 v35, 4, v59
	s_clause 0x1
	global_load_b128 v[31:34], v31, s[4:5] offset:80
	global_load_b128 v[35:38], v35, s[4:5] offset:80
	ds_load_2addr_b32 v[51:52], v23 offset0:45 offset1:54
	s_wait_alu 0xf1ff
	v_cndmask_b32_e64 v53, 0, 0xb4, s0
	v_lshl_add_u32 v64, v59, 2, v12
	s_delay_alu instid0(VALU_DEP_2)
	v_add_nc_u32_e32 v60, 0, v53
	ds_load_2addr_b32 v[53:54], v23 offset0:81 offset1:90
	s_wait_loadcnt_dscnt 0x401
	v_mul_f32_e32 v12, v51, v14
	v_mul_f32_e32 v14, v8, v14
	v_mad_u32_u24 v61, 0xb4, v55, 0
	ds_load_2addr_b32 v[55:56], v23 offset0:99 offset1:108
	ds_load_2addr_b32 v[57:58], v23 offset0:63 offset1:72
	s_wait_loadcnt_dscnt 0x301
	v_dual_mul_f32 v67, v52, v18 :: v_dual_mul_f32 v68, v55, v20
	s_wait_loadcnt_dscnt 0x200
	v_dual_mul_f32 v69, v57, v28 :: v_dual_mul_f32 v70, v56, v30
	v_mul_f32_e32 v20, v41, v20
	s_delay_alu instid0(VALU_DEP_3)
	v_fmac_f32_e32 v67, v9, v17
	v_fmac_f32_e32 v68, v41, v19
	s_wait_loadcnt 0x1
	v_dual_mul_f32 v18, v9, v18 :: v_dual_mul_f32 v71, v58, v32
	s_wait_loadcnt 0x0
	v_mul_f32_e32 v73, v53, v36
	v_dual_mul_f32 v36, v39, v36 :: v_dual_fmac_f32 v69, v45, v27
	v_fmac_f32_e32 v70, v42, v29
	v_mul_f32_e32 v32, v46, v32
	v_mul_f32_e32 v66, v54, v16
	v_fma_f32 v9, v52, v17, -v18
	v_fmac_f32_e32 v73, v39, v35
	v_fma_f32 v18, v53, v35, -v36
	v_add_f32_e32 v35, v69, v70
	v_fma_f32 v17, v58, v31, -v32
	v_fmac_f32_e32 v12, v8, v13
	v_fma_f32 v8, v51, v13, -v14
	v_fma_f32 v14, v55, v19, -v20
	v_mul_f32_e32 v16, v40, v16
	s_delay_alu instid0(VALU_DEP_4)
	v_dual_add_f32 v19, v21, v12 :: v_dual_lshlrev_b32 v10, 2, v10
	v_dual_fmac_f32 v71, v46, v31 :: v_dual_mul_f32 v28, v45, v28
	v_mul_f32_e32 v30, v42, v30
	v_sub_f32_e32 v31, v9, v14
	v_fma_f32 v13, v54, v15, -v16
	v_lshlrev_b32_e32 v4, 2, v4
	v_add3_u32 v63, v60, v10, v11
	v_fma_f32 v16, v56, v29, -v30
	v_add_f32_e32 v29, v43, v67
	v_fmac_f32_e32 v66, v40, v15
	v_add_f32_e32 v39, v47, v71
	v_fma_f32 v15, v57, v27, -v28
	v_sub_f32_e32 v27, v8, v13
	v_add3_u32 v4, v61, v4, v11
	ds_load_b32 v65, v0
	ds_load_2addr_b32 v[59:60], v23 offset0:9 offset1:18
	ds_load_2addr_b32 v[10:11], v23 offset0:117 offset1:126
	ds_load_2addr_b32 v[61:62], v23 offset0:27 offset1:36
	v_add_f32_e32 v20, v12, v66
	v_add_f32_e32 v46, v48, v73
	global_wb scope:SCOPE_SE
	s_wait_dscnt 0x0
	s_barrier_signal -1
	s_barrier_wait -1
	v_fmac_f32_e32 v21, -0.5, v20
	global_inv scope:SCOPE_SE
	v_add_f32_e32 v28, v65, v8
	v_add_f32_e32 v8, v8, v13
	v_mul_f32_e32 v72, v10, v34
	v_mul_f32_e32 v34, v49, v34
	;; [unrolled: 1-line block ×3, first 2 shown]
	v_add_f32_e32 v51, v62, v18
	v_dual_mul_f32 v38, v50, v38 :: v_dual_fmac_f32 v65, -0.5, v8
	s_delay_alu instid0(VALU_DEP_4) | instskip(NEXT) | instid1(VALU_DEP_4)
	v_fma_f32 v10, v10, v33, -v34
	v_fmac_f32_e32 v74, v50, v37
	v_add_f32_e32 v30, v67, v68
	s_delay_alu instid0(VALU_DEP_4) | instskip(SKIP_2) | instid1(VALU_DEP_3)
	v_fma_f32 v11, v11, v37, -v38
	v_add_f32_e32 v37, v60, v15
	v_dual_sub_f32 v41, v17, v10 :: v_dual_sub_f32 v36, v15, v16
	v_dual_add_f32 v15, v15, v16 :: v_dual_sub_f32 v50, v18, v11
	v_add_f32_e32 v18, v18, v11
	v_add_f32_e32 v8, v29, v68
	;; [unrolled: 1-line block ×3, first 2 shown]
	s_delay_alu instid0(VALU_DEP_4)
	v_fmac_f32_e32 v60, -0.5, v15
	v_add_f32_e32 v32, v59, v9
	v_fmac_f32_e32 v72, v49, v33
	v_add_f32_e32 v9, v9, v14
	v_sub_f32_e32 v33, v67, v68
	v_add_f32_e32 v17, v17, v10
	s_delay_alu instid0(VALU_DEP_4)
	v_dual_add_f32 v29, v32, v14 :: v_dual_add_f32 v40, v71, v72
	v_dual_add_f32 v32, v37, v16 :: v_dual_add_f32 v37, v51, v11
	v_fmamk_f32 v11, v27, 0xbf5db3d7, v21
	v_dual_add_f32 v49, v73, v74 :: v_dual_add_f32 v28, v28, v13
	v_fma_f32 v13, -0.5, v30, v43
	v_fma_f32 v30, -0.5, v9, v59
	v_sub_f32_e32 v12, v12, v66
	v_fma_f32 v15, -0.5, v40, v47
	v_add_f32_e32 v34, v44, v69
	v_fmac_f32_e32 v44, -0.5, v35
	v_dual_fmac_f32 v48, -0.5, v49 :: v_dual_add_f32 v19, v19, v66
	v_dual_fmac_f32 v21, 0x3f5db3d7, v27 :: v_dual_add_f32 v14, v39, v72
	v_fmamk_f32 v39, v12, 0x3f5db3d7, v65
	v_fmac_f32_e32 v65, 0xbf5db3d7, v12
	v_fmamk_f32 v12, v31, 0xbf5db3d7, v13
	v_fmac_f32_e32 v13, 0x3f5db3d7, v31
	v_fma_f32 v35, -0.5, v17, v61
	v_fmamk_f32 v17, v41, 0xbf5db3d7, v15
	v_add_f32_e32 v9, v34, v70
	v_add_f32_e32 v34, v42, v10
	v_add_f32_e32 v10, v46, v74
	v_dual_fmac_f32 v62, -0.5, v18 :: v_dual_fmac_f32 v15, 0x3f5db3d7, v41
	v_fmamk_f32 v16, v36, 0xbf5db3d7, v44
	v_fmamk_f32 v18, v50, 0xbf5db3d7, v48
	v_fmac_f32_e32 v44, 0x3f5db3d7, v36
	v_fmac_f32_e32 v48, 0x3f5db3d7, v50
	ds_store_2addr_b32 v23, v19, v11 offset1:15
	ds_store_b32 v23, v21 offset:120
	ds_store_2addr_b32 v63, v8, v12 offset1:15
	ds_store_b32 v63, v13 offset:120
	ds_store_2addr_b32 v23, v9, v16 offset0:48 offset1:63
	ds_store_b32 v23, v44 offset:312
	ds_store_2addr_b32 v4, v14, v17 offset1:15
	ds_store_b32 v4, v15 offset:120
	ds_store_2addr_b32 v64, v10, v18 offset0:90 offset1:105
	ds_store_b32 v64, v48 offset:480
	global_wb scope:SCOPE_SE
	s_wait_dscnt 0x0
	s_barrier_signal -1
	s_barrier_wait -1
	global_inv scope:SCOPE_SE
	ds_load_b32 v27, v0
	ds_load_2addr_b32 v[10:11], v23 offset0:45 offset1:54
	ds_load_2addr_b32 v[20:21], v23 offset0:81 offset1:90
	;; [unrolled: 1-line block ×7, first 2 shown]
	v_dual_sub_f32 v45, v71, v72 :: v_dual_sub_f32 v38, v69, v70
	v_sub_f32_e32 v52, v73, v74
	v_fmamk_f32 v31, v33, 0x3f5db3d7, v30
	v_fmac_f32_e32 v30, 0xbf5db3d7, v33
	s_delay_alu instid0(VALU_DEP_4)
	v_fmamk_f32 v36, v45, 0x3f5db3d7, v35
	v_fmac_f32_e32 v35, 0xbf5db3d7, v45
	v_fmamk_f32 v33, v38, 0x3f5db3d7, v60
	v_fmac_f32_e32 v60, 0xbf5db3d7, v38
	;; [unrolled: 2-line block ×3, first 2 shown]
	global_wb scope:SCOPE_SE
	s_wait_dscnt 0x0
	s_barrier_signal -1
	s_barrier_wait -1
	global_inv scope:SCOPE_SE
	ds_store_2addr_b32 v23, v28, v39 offset1:15
	ds_store_b32 v23, v65 offset:120
	ds_store_2addr_b32 v63, v29, v31 offset1:15
	ds_store_b32 v63, v30 offset:120
	ds_store_2addr_b32 v23, v32, v33 offset0:48 offset1:63
	ds_store_b32 v23, v60 offset:312
	ds_store_2addr_b32 v4, v34, v36 offset1:15
	ds_store_b32 v4, v35 offset:120
	ds_store_2addr_b32 v64, v37, v38 offset0:90 offset1:105
	ds_store_b32 v64, v62 offset:480
	global_wb scope:SCOPE_SE
	s_wait_dscnt 0x0
	s_barrier_signal -1
	s_barrier_wait -1
	global_inv scope:SCOPE_SE
	s_and_saveexec_b32 s0, vcc_lo
	s_cbranch_execz .LBB0_12
; %bb.11:
	v_lshlrev_b32_e32 v4, 1, v24
	v_mul_hi_u32 v56, 0x6c16c16d, v25
	v_mul_hi_u32 v58, 0x6c16c16d, v24
	s_delay_alu instid0(VALU_DEP_3) | instskip(NEXT) | instid1(VALU_DEP_3)
	v_lshlrev_b64_e32 v[28:29], 3, v[4:5]
	v_sub_nc_u32_e32 v57, v25, v56
	s_delay_alu instid0(VALU_DEP_3) | instskip(NEXT) | instid1(VALU_DEP_3)
	v_sub_nc_u32_e32 v24, v24, v58
	v_add_co_u32 v28, vcc_lo, s4, v28
	s_wait_alu 0xfffd
	s_delay_alu instid0(VALU_DEP_4)
	v_add_co_ci_u32_e32 v29, vcc_lo, s5, v29, vcc_lo
	v_lshrrev_b32_e32 v57, 1, v57
	v_lshrrev_b32_e32 v24, 1, v24
	s_clause 0x1
	global_load_b128 v[28:31], v[28:29], off offset:320
	global_load_b128 v[32:35], v[6:7], off offset:320
	v_lshlrev_b32_e32 v4, 1, v25
	v_add_nc_u32_e32 v60, v57, v56
	s_delay_alu instid0(VALU_DEP_2) | instskip(SKIP_1) | instid1(VALU_DEP_2)
	v_lshlrev_b64_e32 v[36:37], 3, v[4:5]
	v_lshlrev_b32_e32 v4, 1, v22
	v_add_co_u32 v6, vcc_lo, s4, v36
	s_wait_alu 0xfffd
	s_delay_alu instid0(VALU_DEP_3) | instskip(SKIP_3) | instid1(VALU_DEP_2)
	v_add_co_ci_u32_e32 v7, vcc_lo, s5, v37, vcc_lo
	global_load_b128 v[36:39], v[6:7], off offset:320
	v_lshlrev_b64_e32 v[6:7], 3, v[4:5]
	v_lshlrev_b32_e32 v4, 1, v26
	v_add_co_u32 v6, vcc_lo, s4, v6
	s_wait_alu 0xfffd
	s_delay_alu instid0(VALU_DEP_3) | instskip(SKIP_3) | instid1(VALU_DEP_2)
	v_add_co_ci_u32_e32 v7, vcc_lo, s5, v7, vcc_lo
	global_load_b128 v[40:43], v[6:7], off offset:320
	v_lshlrev_b64_e32 v[6:7], 3, v[4:5]
	v_mul_hi_u32 v4, 0x6c16c16d, v22
	v_add_co_u32 v6, vcc_lo, s4, v6
	s_wait_alu 0xfffd
	s_delay_alu instid0(VALU_DEP_3) | instskip(NEXT) | instid1(VALU_DEP_3)
	v_add_co_ci_u32_e32 v7, vcc_lo, s5, v7, vcc_lo
	v_sub_nc_u32_e32 v22, v22, v4
	global_load_b128 v[44:47], v[6:7], off offset:320
	ds_load_2addr_b32 v[6:7], v23 offset0:27 offset1:36
	v_lshrrev_b32_e32 v22, 1, v22
	ds_load_2addr_b32 v[48:49], v23 offset0:81 offset1:90
	ds_load_2addr_b32 v[50:51], v23 offset0:117 offset1:126
	;; [unrolled: 1-line block ×5, first 2 shown]
	ds_load_b32 v61, v0
	v_add_nc_u32_e32 v0, v24, v58
	v_dual_mov_b32 v4, v5 :: v_dual_add_nc_u32 v59, v22, v4
	ds_load_2addr_b32 v[22:23], v23 offset0:45 offset1:54
	v_add_co_u32 v24, vcc_lo, s8, v1
	v_lshrrev_b32_e32 v59, 5, v59
	v_lshlrev_b64_e32 v[56:57], 3, v[3:4]
	v_lshrrev_b32_e32 v3, 5, v60
	s_wait_alu 0xfffd
	v_add_co_ci_u32_e32 v58, vcc_lo, s9, v2, vcc_lo
	v_mul_u32_u24_e32 v4, 0x5a, v59
	s_delay_alu instid0(VALU_DEP_4)
	v_add_co_u32 v2, vcc_lo, v24, v56
	s_wait_loadcnt 0x4
	v_mul_f32_e32 v24, v20, v29
	s_wait_loadcnt_dscnt 0x306
	v_dual_mul_f32 v29, v48, v29 :: v_dual_mul_f32 v60, v21, v35
	v_mul_f32_e32 v35, v49, v35
	v_lshrrev_b32_e32 v59, 5, v0
	v_lshlrev_b64_e32 v[0:1], 3, v[4:5]
	v_mul_u32_u24_e32 v4, 0x5a, v3
	s_wait_alu 0xfffd
	v_add_co_ci_u32_e32 v3, vcc_lo, v58, v57, vcc_lo
	v_dual_mul_f32 v58, v19, v31 :: v_dual_fmac_f32 v29, v20, v28
	s_wait_dscnt 0x5
	v_mul_f32_e32 v31, v51, v31
	v_lshlrev_b64_e32 v[56:57], 3, v[4:5]
	v_mul_u32_u24_e32 v4, 0x5a, v59
	v_mul_f32_e32 v59, v10, v33
	s_wait_dscnt 0x0
	v_mul_f32_e32 v33, v22, v33
	v_fma_f32 v24, v48, v28, -v24
	v_fma_f32 v48, v51, v30, -v58
	v_fmac_f32_e32 v31, v19, v30
	v_fma_f32 v22, v22, v32, -v59
	s_wait_loadcnt 0x2
	v_dual_mul_f32 v19, v17, v37 :: v_dual_mul_f32 v20, v18, v39
	v_dual_mul_f32 v28, v53, v37 :: v_dual_mul_f32 v37, v50, v39
	v_fmac_f32_e32 v33, v10, v32
	v_fma_f32 v30, v49, v34, -v60
	v_dual_fmac_f32 v35, v21, v34 :: v_dual_add_f32 v10, v24, v48
	v_dual_sub_f32 v32, v29, v31 :: v_dual_add_f32 v21, v7, v24
	v_dual_add_f32 v34, v29, v31 :: v_dual_fmac_f32 v37, v18, v38
	v_dual_sub_f32 v24, v24, v48 :: v_dual_add_f32 v29, v15, v29
	v_fma_f32 v39, v53, v36, -v19
	v_fma_f32 v49, v50, v38, -v20
	v_fmac_f32_e32 v28, v17, v36
	s_wait_loadcnt 0x1
	v_dual_mul_f32 v36, v16, v41 :: v_dual_sub_f32 v51, v33, v35
	v_dual_mul_f32 v38, v13, v43 :: v_dual_sub_f32 v59, v22, v30
	v_mul_f32_e32 v41, v52, v41
	v_dual_mul_f32 v43, v55, v43 :: v_dual_add_f32 v50, v22, v30
	v_add_f32_e32 v53, v61, v22
	v_dual_add_f32 v58, v33, v35 :: v_dual_add_f32 v33, v27, v33
	v_fma_f32 v18, -0.5, v10, v7
	v_add_f32_e32 v7, v39, v49
	v_fma_f32 v17, -0.5, v34, v15
	v_dual_add_f32 v19, v29, v31 :: v_dual_sub_f32 v34, v39, v49
	v_dual_add_f32 v10, v6, v39 :: v_dual_add_f32 v29, v28, v37
	v_dual_add_f32 v22, v53, v30 :: v_dual_add_f32 v39, v14, v28
	v_fma_f32 v36, v52, v40, -v36
	v_fma_f32 v38, v55, v42, -v38
	v_fmac_f32_e32 v41, v16, v40
	v_fmac_f32_e32 v43, v13, v42
	s_wait_loadcnt 0x0
	v_dual_mul_f32 v13, v11, v45 :: v_dual_mul_f32 v40, v12, v47
	v_dual_mul_f32 v42, v23, v45 :: v_dual_mul_f32 v45, v54, v47
	v_dual_add_f32 v20, v21, v48 :: v_dual_sub_f32 v31, v28, v37
	v_fma_f32 v16, -0.5, v50, v61
	v_fma_f32 v15, -0.5, v58, v27
	v_dual_add_f32 v21, v33, v35 :: v_dual_add_f32 v30, v10, v49
	v_fmamk_f32 v28, v32, 0xbf5db3d7, v18
	v_dual_fmac_f32 v18, 0x3f5db3d7, v32 :: v_dual_fmamk_f32 v27, v24, 0x3f5db3d7, v17
	v_add_f32_e32 v32, v26, v36
	v_fma_f32 v7, -0.5, v7, v6
	v_fma_f32 v6, -0.5, v29, v14
	v_dual_add_f32 v29, v39, v37 :: v_dual_add_f32 v14, v36, v38
	v_dual_sub_f32 v33, v41, v43 :: v_dual_fmac_f32 v42, v11, v44
	v_dual_add_f32 v35, v41, v43 :: v_dual_fmamk_f32 v10, v59, 0x3f5db3d7, v15
	v_fma_f32 v39, v23, v44, -v13
	v_fma_f32 v40, v54, v46, -v40
	v_fmac_f32_e32 v45, v12, v46
	v_fmac_f32_e32 v17, 0xbf5db3d7, v24
	v_dual_sub_f32 v37, v36, v38 :: v_dual_fmamk_f32 v12, v34, 0x3f5db3d7, v6
	v_dual_add_f32 v36, v9, v41 :: v_dual_fmamk_f32 v11, v51, 0xbf5db3d7, v16
	v_dual_add_f32 v32, v32, v38 :: v_dual_fmac_f32 v15, 0xbf5db3d7, v59
	v_fmac_f32_e32 v6, 0xbf5db3d7, v34
	v_fma_f32 v23, -0.5, v35, v9
	v_dual_add_f32 v9, v39, v40 :: v_dual_add_f32 v34, v25, v39
	v_fmamk_f32 v13, v31, 0xbf5db3d7, v7
	v_dual_fmac_f32 v7, 0x3f5db3d7, v31 :: v_dual_sub_f32 v38, v39, v40
	v_add_f32_e32 v35, v42, v45
	v_fma_f32 v24, -0.5, v14, v26
	v_add_f32_e32 v31, v36, v43
	v_add_f32_e32 v36, v8, v42
	v_add_co_u32 v0, vcc_lo, v2, v0
	s_delay_alu instid0(VALU_DEP_4)
	v_fmamk_f32 v26, v33, 0xbf5db3d7, v24
	v_lshlrev_b64_e32 v[4:5], 3, v[4:5]
	v_sub_f32_e32 v14, v42, v45
	v_fma_f32 v9, -0.5, v9, v25
	v_fma_f32 v8, -0.5, v35, v8
	s_wait_alu 0xfffd
	v_add_co_ci_u32_e32 v1, vcc_lo, v3, v1, vcc_lo
	v_add_co_u32 v56, vcc_lo, v2, v56
	v_dual_fmac_f32 v24, 0x3f5db3d7, v33 :: v_dual_fmamk_f32 v25, v37, 0x3f5db3d7, v23
	v_dual_add_f32 v34, v34, v40 :: v_dual_add_f32 v33, v36, v45
	s_wait_alu 0xfffd
	v_add_co_ci_u32_e32 v57, vcc_lo, v3, v57, vcc_lo
	v_fmac_f32_e32 v16, 0x3f5db3d7, v51
	v_add_co_u32 v4, vcc_lo, v2, v4
	v_fmamk_f32 v36, v14, 0xbf5db3d7, v9
	v_fmac_f32_e32 v9, 0x3f5db3d7, v14
	v_fmamk_f32 v35, v38, 0x3f5db3d7, v8
	v_fmac_f32_e32 v8, 0xbf5db3d7, v38
	s_wait_alu 0xfffd
	v_add_co_ci_u32_e32 v5, vcc_lo, v3, v5, vcc_lo
	v_fmac_f32_e32 v23, 0xbf5db3d7, v37
	s_clause 0xe
	global_store_b64 v[2:3], v[21:22], off
	global_store_b64 v[2:3], v[33:34], off offset:72
	global_store_b64 v[2:3], v[15:16], off offset:360
	;; [unrolled: 1-line block ×14, first 2 shown]
.LBB0_12:
	s_nop 0
	s_sendmsg sendmsg(MSG_DEALLOC_VGPRS)
	s_endpgm
	.section	.rodata,"a",@progbits
	.p2align	6, 0x0
	.amdhsa_kernel fft_rtc_back_len135_factors_5_3_3_3_wgs_126_tpt_9_halfLds_sp_ip_CI_unitstride_sbrr_dirReg
		.amdhsa_group_segment_fixed_size 0
		.amdhsa_private_segment_fixed_size 0
		.amdhsa_kernarg_size 88
		.amdhsa_user_sgpr_count 2
		.amdhsa_user_sgpr_dispatch_ptr 0
		.amdhsa_user_sgpr_queue_ptr 0
		.amdhsa_user_sgpr_kernarg_segment_ptr 1
		.amdhsa_user_sgpr_dispatch_id 0
		.amdhsa_user_sgpr_private_segment_size 0
		.amdhsa_wavefront_size32 1
		.amdhsa_uses_dynamic_stack 0
		.amdhsa_enable_private_segment 0
		.amdhsa_system_sgpr_workgroup_id_x 1
		.amdhsa_system_sgpr_workgroup_id_y 0
		.amdhsa_system_sgpr_workgroup_id_z 0
		.amdhsa_system_sgpr_workgroup_info 0
		.amdhsa_system_vgpr_workitem_id 0
		.amdhsa_next_free_vgpr 83
		.amdhsa_next_free_sgpr 32
		.amdhsa_reserve_vcc 1
		.amdhsa_float_round_mode_32 0
		.amdhsa_float_round_mode_16_64 0
		.amdhsa_float_denorm_mode_32 3
		.amdhsa_float_denorm_mode_16_64 3
		.amdhsa_fp16_overflow 0
		.amdhsa_workgroup_processor_mode 1
		.amdhsa_memory_ordered 1
		.amdhsa_forward_progress 0
		.amdhsa_round_robin_scheduling 0
		.amdhsa_exception_fp_ieee_invalid_op 0
		.amdhsa_exception_fp_denorm_src 0
		.amdhsa_exception_fp_ieee_div_zero 0
		.amdhsa_exception_fp_ieee_overflow 0
		.amdhsa_exception_fp_ieee_underflow 0
		.amdhsa_exception_fp_ieee_inexact 0
		.amdhsa_exception_int_div_zero 0
	.end_amdhsa_kernel
	.text
.Lfunc_end0:
	.size	fft_rtc_back_len135_factors_5_3_3_3_wgs_126_tpt_9_halfLds_sp_ip_CI_unitstride_sbrr_dirReg, .Lfunc_end0-fft_rtc_back_len135_factors_5_3_3_3_wgs_126_tpt_9_halfLds_sp_ip_CI_unitstride_sbrr_dirReg
                                        ; -- End function
	.section	.AMDGPU.csdata,"",@progbits
; Kernel info:
; codeLenInByte = 7240
; NumSgprs: 34
; NumVgprs: 83
; ScratchSize: 0
; MemoryBound: 0
; FloatMode: 240
; IeeeMode: 1
; LDSByteSize: 0 bytes/workgroup (compile time only)
; SGPRBlocks: 4
; VGPRBlocks: 10
; NumSGPRsForWavesPerEU: 34
; NumVGPRsForWavesPerEU: 83
; Occupancy: 16
; WaveLimiterHint : 1
; COMPUTE_PGM_RSRC2:SCRATCH_EN: 0
; COMPUTE_PGM_RSRC2:USER_SGPR: 2
; COMPUTE_PGM_RSRC2:TRAP_HANDLER: 0
; COMPUTE_PGM_RSRC2:TGID_X_EN: 1
; COMPUTE_PGM_RSRC2:TGID_Y_EN: 0
; COMPUTE_PGM_RSRC2:TGID_Z_EN: 0
; COMPUTE_PGM_RSRC2:TIDIG_COMP_CNT: 0
	.text
	.p2alignl 7, 3214868480
	.fill 96, 4, 3214868480
	.type	__hip_cuid_2c698e56331765fa,@object ; @__hip_cuid_2c698e56331765fa
	.section	.bss,"aw",@nobits
	.globl	__hip_cuid_2c698e56331765fa
__hip_cuid_2c698e56331765fa:
	.byte	0                               ; 0x0
	.size	__hip_cuid_2c698e56331765fa, 1

	.ident	"AMD clang version 19.0.0git (https://github.com/RadeonOpenCompute/llvm-project roc-6.4.0 25133 c7fe45cf4b819c5991fe208aaa96edf142730f1d)"
	.section	".note.GNU-stack","",@progbits
	.addrsig
	.addrsig_sym __hip_cuid_2c698e56331765fa
	.amdgpu_metadata
---
amdhsa.kernels:
  - .args:
      - .actual_access:  read_only
        .address_space:  global
        .offset:         0
        .size:           8
        .value_kind:     global_buffer
      - .offset:         8
        .size:           8
        .value_kind:     by_value
      - .actual_access:  read_only
        .address_space:  global
        .offset:         16
        .size:           8
        .value_kind:     global_buffer
      - .actual_access:  read_only
        .address_space:  global
        .offset:         24
        .size:           8
        .value_kind:     global_buffer
      - .offset:         32
        .size:           8
        .value_kind:     by_value
      - .actual_access:  read_only
        .address_space:  global
        .offset:         40
        .size:           8
        .value_kind:     global_buffer
      - .actual_access:  read_only
        .address_space:  global
        .offset:         48
        .size:           8
        .value_kind:     global_buffer
      - .offset:         56
        .size:           4
        .value_kind:     by_value
      - .actual_access:  read_only
        .address_space:  global
        .offset:         64
        .size:           8
        .value_kind:     global_buffer
      - .actual_access:  read_only
        .address_space:  global
        .offset:         72
        .size:           8
        .value_kind:     global_buffer
      - .address_space:  global
        .offset:         80
        .size:           8
        .value_kind:     global_buffer
    .group_segment_fixed_size: 0
    .kernarg_segment_align: 8
    .kernarg_segment_size: 88
    .language:       OpenCL C
    .language_version:
      - 2
      - 0
    .max_flat_workgroup_size: 126
    .name:           fft_rtc_back_len135_factors_5_3_3_3_wgs_126_tpt_9_halfLds_sp_ip_CI_unitstride_sbrr_dirReg
    .private_segment_fixed_size: 0
    .sgpr_count:     34
    .sgpr_spill_count: 0
    .symbol:         fft_rtc_back_len135_factors_5_3_3_3_wgs_126_tpt_9_halfLds_sp_ip_CI_unitstride_sbrr_dirReg.kd
    .uniform_work_group_size: 1
    .uses_dynamic_stack: false
    .vgpr_count:     83
    .vgpr_spill_count: 0
    .wavefront_size: 32
    .workgroup_processor_mode: 1
amdhsa.target:   amdgcn-amd-amdhsa--gfx1201
amdhsa.version:
  - 1
  - 2
...

	.end_amdgpu_metadata
